;; amdgpu-corpus repo=ROCm/rocFFT kind=compiled arch=gfx906 opt=O3
	.text
	.amdgcn_target "amdgcn-amd-amdhsa--gfx906"
	.amdhsa_code_object_version 6
	.protected	fft_rtc_back_len1664_factors_13_2_2_4_2_2_2_wgs_208_tpt_208_halfLds_half_ip_CI_unitstride_sbrr_R2C_dirReg ; -- Begin function fft_rtc_back_len1664_factors_13_2_2_4_2_2_2_wgs_208_tpt_208_halfLds_half_ip_CI_unitstride_sbrr_R2C_dirReg
	.globl	fft_rtc_back_len1664_factors_13_2_2_4_2_2_2_wgs_208_tpt_208_halfLds_half_ip_CI_unitstride_sbrr_R2C_dirReg
	.p2align	8
	.type	fft_rtc_back_len1664_factors_13_2_2_4_2_2_2_wgs_208_tpt_208_halfLds_half_ip_CI_unitstride_sbrr_R2C_dirReg,@function
fft_rtc_back_len1664_factors_13_2_2_4_2_2_2_wgs_208_tpt_208_halfLds_half_ip_CI_unitstride_sbrr_R2C_dirReg: ; @fft_rtc_back_len1664_factors_13_2_2_4_2_2_2_wgs_208_tpt_208_halfLds_half_ip_CI_unitstride_sbrr_R2C_dirReg
; %bb.0:
	s_load_dwordx2 s[2:3], s[4:5], 0x50
	s_load_dwordx4 s[8:11], s[4:5], 0x0
	s_load_dwordx2 s[12:13], s[4:5], 0x18
	v_mul_u32_u24_e32 v1, 0x13c, v0
	v_add_u32_sdwa v5, s6, v1 dst_sel:DWORD dst_unused:UNUSED_PAD src0_sel:DWORD src1_sel:WORD_1
	v_mov_b32_e32 v3, 0
	s_waitcnt lgkmcnt(0)
	v_cmp_lt_u64_e64 s[0:1], s[10:11], 2
	v_mov_b32_e32 v1, 0
	v_mov_b32_e32 v6, v3
	s_and_b64 vcc, exec, s[0:1]
	v_mov_b32_e32 v2, 0
	s_cbranch_vccnz .LBB0_8
; %bb.1:
	s_load_dwordx2 s[0:1], s[4:5], 0x10
	s_add_u32 s6, s12, 8
	s_addc_u32 s7, s13, 0
	v_mov_b32_e32 v1, 0
	v_mov_b32_e32 v2, 0
	s_waitcnt lgkmcnt(0)
	s_add_u32 s14, s0, 8
	s_addc_u32 s15, s1, 0
	s_mov_b64 s[16:17], 1
.LBB0_2:                                ; =>This Inner Loop Header: Depth=1
	s_load_dwordx2 s[18:19], s[14:15], 0x0
                                        ; implicit-def: $vgpr7_vgpr8
	s_waitcnt lgkmcnt(0)
	v_or_b32_e32 v4, s19, v6
	v_cmp_ne_u64_e32 vcc, 0, v[3:4]
	s_and_saveexec_b64 s[0:1], vcc
	s_xor_b64 s[20:21], exec, s[0:1]
	s_cbranch_execz .LBB0_4
; %bb.3:                                ;   in Loop: Header=BB0_2 Depth=1
	v_cvt_f32_u32_e32 v4, s18
	v_cvt_f32_u32_e32 v7, s19
	s_sub_u32 s0, 0, s18
	s_subb_u32 s1, 0, s19
	v_mac_f32_e32 v4, 0x4f800000, v7
	v_rcp_f32_e32 v4, v4
	v_mul_f32_e32 v4, 0x5f7ffffc, v4
	v_mul_f32_e32 v7, 0x2f800000, v4
	v_trunc_f32_e32 v7, v7
	v_mac_f32_e32 v4, 0xcf800000, v7
	v_cvt_u32_f32_e32 v7, v7
	v_cvt_u32_f32_e32 v4, v4
	v_mul_lo_u32 v8, s0, v7
	v_mul_hi_u32 v9, s0, v4
	v_mul_lo_u32 v11, s1, v4
	v_mul_lo_u32 v10, s0, v4
	v_add_u32_e32 v8, v9, v8
	v_add_u32_e32 v8, v8, v11
	v_mul_hi_u32 v9, v4, v10
	v_mul_lo_u32 v11, v4, v8
	v_mul_hi_u32 v13, v4, v8
	v_mul_hi_u32 v12, v7, v10
	v_mul_lo_u32 v10, v7, v10
	v_mul_hi_u32 v14, v7, v8
	v_add_co_u32_e32 v9, vcc, v9, v11
	v_addc_co_u32_e32 v11, vcc, 0, v13, vcc
	v_mul_lo_u32 v8, v7, v8
	v_add_co_u32_e32 v9, vcc, v9, v10
	v_addc_co_u32_e32 v9, vcc, v11, v12, vcc
	v_addc_co_u32_e32 v10, vcc, 0, v14, vcc
	v_add_co_u32_e32 v8, vcc, v9, v8
	v_addc_co_u32_e32 v9, vcc, 0, v10, vcc
	v_add_co_u32_e32 v4, vcc, v4, v8
	v_addc_co_u32_e32 v7, vcc, v7, v9, vcc
	v_mul_lo_u32 v8, s0, v7
	v_mul_hi_u32 v9, s0, v4
	v_mul_lo_u32 v10, s1, v4
	v_mul_lo_u32 v11, s0, v4
	v_add_u32_e32 v8, v9, v8
	v_add_u32_e32 v8, v8, v10
	v_mul_lo_u32 v12, v4, v8
	v_mul_hi_u32 v13, v4, v11
	v_mul_hi_u32 v14, v4, v8
	;; [unrolled: 1-line block ×3, first 2 shown]
	v_mul_lo_u32 v11, v7, v11
	v_mul_hi_u32 v9, v7, v8
	v_add_co_u32_e32 v12, vcc, v13, v12
	v_addc_co_u32_e32 v13, vcc, 0, v14, vcc
	v_mul_lo_u32 v8, v7, v8
	v_add_co_u32_e32 v11, vcc, v12, v11
	v_addc_co_u32_e32 v10, vcc, v13, v10, vcc
	v_addc_co_u32_e32 v9, vcc, 0, v9, vcc
	v_add_co_u32_e32 v8, vcc, v10, v8
	v_addc_co_u32_e32 v9, vcc, 0, v9, vcc
	v_add_co_u32_e32 v4, vcc, v4, v8
	v_addc_co_u32_e32 v9, vcc, v7, v9, vcc
	v_mad_u64_u32 v[7:8], s[0:1], v5, v9, 0
	v_mul_hi_u32 v10, v5, v4
	v_add_co_u32_e32 v11, vcc, v10, v7
	v_addc_co_u32_e32 v12, vcc, 0, v8, vcc
	v_mad_u64_u32 v[7:8], s[0:1], v6, v4, 0
	v_mad_u64_u32 v[9:10], s[0:1], v6, v9, 0
	v_add_co_u32_e32 v4, vcc, v11, v7
	v_addc_co_u32_e32 v4, vcc, v12, v8, vcc
	v_addc_co_u32_e32 v7, vcc, 0, v10, vcc
	v_add_co_u32_e32 v4, vcc, v4, v9
	v_addc_co_u32_e32 v9, vcc, 0, v7, vcc
	v_mul_lo_u32 v10, s19, v4
	v_mul_lo_u32 v11, s18, v9
	v_mad_u64_u32 v[7:8], s[0:1], s18, v4, 0
	v_add3_u32 v8, v8, v11, v10
	v_sub_u32_e32 v10, v6, v8
	v_mov_b32_e32 v11, s19
	v_sub_co_u32_e32 v7, vcc, v5, v7
	v_subb_co_u32_e64 v10, s[0:1], v10, v11, vcc
	v_subrev_co_u32_e64 v11, s[0:1], s18, v7
	v_subbrev_co_u32_e64 v10, s[0:1], 0, v10, s[0:1]
	v_cmp_le_u32_e64 s[0:1], s19, v10
	v_cndmask_b32_e64 v12, 0, -1, s[0:1]
	v_cmp_le_u32_e64 s[0:1], s18, v11
	v_cndmask_b32_e64 v11, 0, -1, s[0:1]
	v_cmp_eq_u32_e64 s[0:1], s19, v10
	v_cndmask_b32_e64 v10, v12, v11, s[0:1]
	v_add_co_u32_e64 v11, s[0:1], 2, v4
	v_addc_co_u32_e64 v12, s[0:1], 0, v9, s[0:1]
	v_add_co_u32_e64 v13, s[0:1], 1, v4
	v_addc_co_u32_e64 v14, s[0:1], 0, v9, s[0:1]
	v_subb_co_u32_e32 v8, vcc, v6, v8, vcc
	v_cmp_ne_u32_e64 s[0:1], 0, v10
	v_cmp_le_u32_e32 vcc, s19, v8
	v_cndmask_b32_e64 v10, v14, v12, s[0:1]
	v_cndmask_b32_e64 v12, 0, -1, vcc
	v_cmp_le_u32_e32 vcc, s18, v7
	v_cndmask_b32_e64 v7, 0, -1, vcc
	v_cmp_eq_u32_e32 vcc, s19, v8
	v_cndmask_b32_e32 v7, v12, v7, vcc
	v_cmp_ne_u32_e32 vcc, 0, v7
	v_cndmask_b32_e64 v7, v13, v11, s[0:1]
	v_cndmask_b32_e32 v8, v9, v10, vcc
	v_cndmask_b32_e32 v7, v4, v7, vcc
.LBB0_4:                                ;   in Loop: Header=BB0_2 Depth=1
	s_andn2_saveexec_b64 s[0:1], s[20:21]
	s_cbranch_execz .LBB0_6
; %bb.5:                                ;   in Loop: Header=BB0_2 Depth=1
	v_cvt_f32_u32_e32 v4, s18
	s_sub_i32 s20, 0, s18
	v_rcp_iflag_f32_e32 v4, v4
	v_mul_f32_e32 v4, 0x4f7ffffe, v4
	v_cvt_u32_f32_e32 v4, v4
	v_mul_lo_u32 v7, s20, v4
	v_mul_hi_u32 v7, v4, v7
	v_add_u32_e32 v4, v4, v7
	v_mul_hi_u32 v4, v5, v4
	v_mul_lo_u32 v7, v4, s18
	v_add_u32_e32 v8, 1, v4
	v_sub_u32_e32 v7, v5, v7
	v_subrev_u32_e32 v9, s18, v7
	v_cmp_le_u32_e32 vcc, s18, v7
	v_cndmask_b32_e32 v7, v7, v9, vcc
	v_cndmask_b32_e32 v4, v4, v8, vcc
	v_add_u32_e32 v8, 1, v4
	v_cmp_le_u32_e32 vcc, s18, v7
	v_cndmask_b32_e32 v7, v4, v8, vcc
	v_mov_b32_e32 v8, v3
.LBB0_6:                                ;   in Loop: Header=BB0_2 Depth=1
	s_or_b64 exec, exec, s[0:1]
	v_mul_lo_u32 v4, v8, s18
	v_mul_lo_u32 v11, v7, s19
	v_mad_u64_u32 v[9:10], s[0:1], v7, s18, 0
	s_load_dwordx2 s[0:1], s[6:7], 0x0
	s_add_u32 s16, s16, 1
	v_add3_u32 v4, v10, v11, v4
	v_sub_co_u32_e32 v5, vcc, v5, v9
	v_subb_co_u32_e32 v4, vcc, v6, v4, vcc
	s_waitcnt lgkmcnt(0)
	v_mul_lo_u32 v4, s0, v4
	v_mul_lo_u32 v6, s1, v5
	v_mad_u64_u32 v[1:2], s[0:1], s0, v5, v[1:2]
	s_addc_u32 s17, s17, 0
	s_add_u32 s6, s6, 8
	v_add3_u32 v2, v6, v2, v4
	v_mov_b32_e32 v4, s10
	v_mov_b32_e32 v5, s11
	s_addc_u32 s7, s7, 0
	v_cmp_ge_u64_e32 vcc, s[16:17], v[4:5]
	s_add_u32 s14, s14, 8
	s_addc_u32 s15, s15, 0
	s_cbranch_vccnz .LBB0_9
; %bb.7:                                ;   in Loop: Header=BB0_2 Depth=1
	v_mov_b32_e32 v5, v7
	v_mov_b32_e32 v6, v8
	s_branch .LBB0_2
.LBB0_8:
	v_mov_b32_e32 v8, v6
	v_mov_b32_e32 v7, v5
.LBB0_9:
	s_lshl_b64 s[0:1], s[10:11], 3
	s_add_u32 s0, s12, s0
	s_addc_u32 s1, s13, s1
	s_load_dwordx2 s[6:7], s[0:1], 0x0
	s_load_dwordx2 s[10:11], s[4:5], 0x20
	s_waitcnt lgkmcnt(0)
	v_mad_u64_u32 v[1:2], s[0:1], s6, v7, v[1:2]
	s_mov_b32 s0, 0x13b13b2
	v_mul_lo_u32 v3, s6, v8
	v_mul_lo_u32 v4, s7, v7
	v_mul_hi_u32 v5, v0, s0
	v_cmp_gt_u64_e64 s[0:1], s[10:11], v[7:8]
	v_add3_u32 v2, v4, v2, v3
	v_mul_u32_u24_e32 v3, 0xd0, v5
	v_sub_u32_e32 v0, v0, v3
	v_lshlrev_b64 v[2:3], 2, v[1:2]
	v_lshl_add_u32 v16, v0, 2, 0
	s_and_saveexec_b64 s[4:5], s[0:1]
	s_cbranch_execz .LBB0_11
; %bb.10:
	v_mov_b32_e32 v1, 0
	v_mov_b32_e32 v4, s3
	v_add_co_u32_e32 v6, vcc, s2, v2
	v_addc_co_u32_e32 v7, vcc, v4, v3, vcc
	v_lshlrev_b64 v[4:5], 2, v[0:1]
	v_add_co_u32_e32 v4, vcc, v6, v4
	v_addc_co_u32_e32 v5, vcc, v7, v5, vcc
	v_add_co_u32_e32 v6, vcc, 0x1000, v4
	v_addc_co_u32_e32 v7, vcc, 0, v5, vcc
	global_load_dword v1, v[4:5], off
	global_load_dword v8, v[4:5], off offset:832
	global_load_dword v9, v[4:5], off offset:1664
	;; [unrolled: 1-line block ×7, first 2 shown]
	v_add_u32_e32 v4, 0x600, v16
	v_add_u32_e32 v5, 0xd00, v16
	;; [unrolled: 1-line block ×3, first 2 shown]
	s_waitcnt vmcnt(6)
	ds_write2_b32 v16, v1, v8 offset1:208
	s_waitcnt vmcnt(4)
	ds_write2_b32 v4, v9, v10 offset0:32 offset1:240
	s_waitcnt vmcnt(2)
	ds_write2_b32 v5, v11, v12 offset1:208
	s_waitcnt vmcnt(0)
	ds_write2_b32 v6, v13, v14 offset0:32 offset1:240
.LBB0_11:
	s_or_b64 exec, exec, s[4:5]
	s_waitcnt lgkmcnt(0)
	s_barrier
	ds_read2st64_b32 v[4:5], v16 offset1:2
	ds_read2st64_b32 v[12:13], v16 offset0:4 offset1:6
	ds_read2st64_b32 v[8:9], v16 offset0:8 offset1:10
	;; [unrolled: 1-line block ×5, first 2 shown]
	ds_read_b32 v19, v16 offset:6144
	s_movk_i32 s4, 0x80
	v_cmp_gt_u32_e32 vcc, s4, v0
	s_waitcnt lgkmcnt(0)
	s_barrier
	s_and_saveexec_b64 s[4:5], vcc
	s_cbranch_execz .LBB0_13
; %bb.12:
	v_pk_add_f16 v1, v4, v5
	v_pk_add_f16 v1, v1, v12
	;; [unrolled: 1-line block ×11, first 2 shown]
	v_pk_add_f16 v18, v5, v19 neg_lo:[0,1] neg_hi:[0,1]
	s_mov_b32 s18, 0xb770
	v_pk_add_f16 v20, v1, v19
	v_pk_add_f16 v17, v12, v15 neg_lo:[0,1] neg_hi:[0,1]
	v_pk_add_f16 v12, v15, v12
	v_pk_add_f16 v15, v13, v14 neg_lo:[0,1] neg_hi:[0,1]
	v_pk_add_f16 v1, v14, v13
	v_pk_add_f16 v13, v8, v11 neg_lo:[0,1] neg_hi:[0,1]
	v_pk_add_f16 v8, v11, v8
	v_pk_add_f16 v11, v9, v10 neg_lo:[0,1] neg_hi:[0,1]
	v_pk_add_f16 v9, v10, v9
	v_pk_add_f16 v10, v19, v5
	v_pk_add_f16 v14, v6, v7 neg_lo:[0,1] neg_hi:[0,1]
	v_pk_add_f16 v5, v7, v6
	s_movk_i32 s7, 0x3b15
	s_mov_b32 s10, 0xba95
	v_pk_mul_f16 v6, v18, s18 op_sel_hi:[1,0]
	s_movk_i32 s6, 0x388b
	v_pk_fma_f16 v7, v10, s7, v6 op_sel:[0,0,1] op_sel_hi:[1,0,0]
	v_pk_fma_f16 v6, v10, s7, v6 op_sel:[0,0,1] op_sel_hi:[1,0,0] neg_lo:[0,0,1] neg_hi:[0,0,1]
	s_mov_b32 s11, 0xffff
	v_pk_mul_f16 v21, v17, s10 op_sel_hi:[1,0]
	v_bfi_b32 v19, s11, v7, v6
	v_pk_fma_f16 v22, v12, s6, v21 op_sel:[0,0,1] op_sel_hi:[1,0,0]
	v_pk_fma_f16 v21, v12, s6, v21 op_sel:[0,0,1] op_sel_hi:[1,0,0] neg_lo:[0,0,1] neg_hi:[0,0,1]
	v_pk_add_f16 v19, v4, v19
	v_bfi_b32 v23, s11, v22, v21
	s_mov_b32 s19, 0xbbf1
	v_pk_add_f16 v19, v23, v19
	s_movk_i32 s12, 0x2fb7
	v_pk_mul_f16 v23, v15, s19 op_sel_hi:[1,0]
	v_pk_fma_f16 v24, v1, s12, v23 op_sel:[0,0,1] op_sel_hi:[1,0,0]
	v_pk_fma_f16 v23, v1, s12, v23 op_sel:[0,0,1] op_sel_hi:[1,0,0] neg_lo:[0,0,1] neg_hi:[0,0,1]
	v_bfi_b32 v25, s11, v24, v23
	s_mov_b32 s16, 0xbb7b
	v_pk_add_f16 v19, v25, v19
	s_mov_b32 s13, 0xb5ac
	v_pk_mul_f16 v25, v13, s16 op_sel_hi:[1,0]
	v_pk_fma_f16 v26, v8, s13, v25 op_sel:[0,0,1] op_sel_hi:[1,0,0]
	v_pk_fma_f16 v25, v8, s13, v25 op_sel:[0,0,1] op_sel_hi:[1,0,0] neg_lo:[0,0,1] neg_hi:[0,0,1]
	v_bfi_b32 v27, s11, v26, v25
	s_mov_b32 s20, 0xb94e
	v_pk_add_f16 v19, v27, v19
	s_mov_b32 s14, 0xb9fd
	;; [unrolled: 7-line block ×3, first 2 shown]
	v_pk_mul_f16 v29, v14, s17 op_sel_hi:[1,0]
	v_pk_fma_f16 v30, v5, s15, v29 op_sel:[0,0,1] op_sel_hi:[1,0,0]
	v_pk_fma_f16 v29, v5, s15, v29 op_sel:[0,0,1] op_sel_hi:[1,0,0] neg_lo:[0,0,1] neg_hi:[0,0,1]
	v_bfi_b32 v31, s11, v30, v29
	v_pk_add_f16 v19, v31, v19
	v_mad_u32_u24 v31, v0, 48, v16
	ds_write2_b32 v31, v20, v19 offset1:1
	s_movk_i32 s21, 0x3bf1
	v_mul_f16_sdwa v19, v10, s12 dst_sel:DWORD dst_unused:UNUSED_PAD src0_sel:WORD_1 src1_sel:DWORD
	s_movk_i32 s24, 0x33a8
	v_fma_f16 v20, v18, s21, v19
	v_mul_f16_sdwa v32, v12, s15 dst_sel:DWORD dst_unused:UNUSED_PAD src0_sel:WORD_1 src1_sel:DWORD
	v_add_f16_sdwa v20, v4, v20 dst_sel:DWORD dst_unused:UNUSED_PAD src0_sel:WORD_1 src1_sel:DWORD
	v_fma_f16 v33, v17, s24, v32
	v_add_f16_e32 v20, v33, v20
	v_mul_f16_sdwa v33, v1, s13 dst_sel:DWORD dst_unused:UNUSED_PAD src0_sel:WORD_1 src1_sel:DWORD
	v_fma_f16 v34, v15, s16, v33
	v_add_f16_e32 v20, v34, v20
	v_mul_f16_sdwa v34, v8, s7 dst_sel:DWORD dst_unused:UNUSED_PAD src0_sel:WORD_1 src1_sel:DWORD
	v_fma_f16 v35, v13, s18, v34
	v_add_f16_e32 v20, v35, v20
	s_movk_i32 s26, 0x3a95
	v_mul_f16_sdwa v35, v9, s6 dst_sel:DWORD dst_unused:UNUSED_PAD src0_sel:WORD_1 src1_sel:DWORD
	v_fma_f16 v36, v11, s26, v35
	v_add_f16_e32 v20, v36, v20
	s_movk_i32 s22, 0x394e
	v_mul_f16_sdwa v36, v5, s14 dst_sel:DWORD dst_unused:UNUSED_PAD src0_sel:WORD_1 src1_sel:DWORD
	v_fma_f16 v37, v14, s22, v36
	v_add_f16_e32 v20, v37, v20
	v_mul_f16_sdwa v37, v18, s19 dst_sel:DWORD dst_unused:UNUSED_PAD src0_sel:WORD_1 src1_sel:DWORD
	v_fma_f16 v38, v10, s12, v37
	v_mul_f16_sdwa v39, v17, s17 dst_sel:DWORD dst_unused:UNUSED_PAD src0_sel:WORD_1 src1_sel:DWORD
	v_add_f16_e32 v38, v4, v38
	v_fma_f16 v40, v12, s15, v39
	s_movk_i32 s25, 0x3b7b
	v_add_f16_e32 v38, v40, v38
	v_mul_f16_sdwa v40, v15, s25 dst_sel:DWORD dst_unused:UNUSED_PAD src0_sel:WORD_1 src1_sel:DWORD
	v_fma_f16 v41, v1, s13, v40
	s_movk_i32 s23, 0x3770
	v_add_f16_e32 v38, v41, v38
	v_mul_f16_sdwa v41, v13, s23 dst_sel:DWORD dst_unused:UNUSED_PAD src0_sel:WORD_1 src1_sel:DWORD
	v_fma_f16 v42, v8, s7, v41
	v_add_f16_e32 v38, v42, v38
	v_mul_f16_sdwa v42, v11, s10 dst_sel:DWORD dst_unused:UNUSED_PAD src0_sel:WORD_1 src1_sel:DWORD
	v_fma_f16 v43, v9, s6, v42
	v_add_f16_e32 v38, v43, v38
	v_mul_f16_sdwa v43, v14, s20 dst_sel:DWORD dst_unused:UNUSED_PAD src0_sel:WORD_1 src1_sel:DWORD
	v_fma_f16 v44, v5, s14, v43
	v_add_f16_e32 v38, v44, v38
	v_mul_f16_sdwa v44, v10, s6 dst_sel:DWORD dst_unused:UNUSED_PAD src0_sel:WORD_1 src1_sel:DWORD
	v_fma_f16 v45, v18, s26, v44
	v_mul_f16_sdwa v46, v12, s13 dst_sel:DWORD dst_unused:UNUSED_PAD src0_sel:WORD_1 src1_sel:DWORD
	v_add_f16_sdwa v45, v4, v45 dst_sel:DWORD dst_unused:UNUSED_PAD src0_sel:WORD_1 src1_sel:DWORD
	v_fma_f16 v47, v17, s25, v46
	v_add_f16_e32 v45, v47, v45
	v_mul_f16_sdwa v47, v1, s15 dst_sel:DWORD dst_unused:UNUSED_PAD src0_sel:WORD_1 src1_sel:DWORD
	v_fma_f16 v48, v15, s24, v47
	v_add_f16_e32 v45, v48, v45
	v_mul_f16_sdwa v48, v8, s14 dst_sel:DWORD dst_unused:UNUSED_PAD src0_sel:WORD_1 src1_sel:DWORD
	;; [unrolled: 3-line block ×5, first 2 shown]
	v_fma_f16 v52, v10, s6, v51
	v_mul_f16_sdwa v53, v17, s16 dst_sel:DWORD dst_unused:UNUSED_PAD src0_sel:WORD_1 src1_sel:DWORD
	v_add_f16_e32 v52, v4, v52
	v_fma_f16 v54, v12, s13, v53
	v_add_f16_e32 v52, v54, v52
	v_mul_f16_sdwa v54, v15, s17 dst_sel:DWORD dst_unused:UNUSED_PAD src0_sel:WORD_1 src1_sel:DWORD
	v_fma_f16 v55, v1, s15, v54
	v_add_f16_e32 v52, v55, v52
	v_mul_f16_sdwa v55, v13, s22 dst_sel:DWORD dst_unused:UNUSED_PAD src0_sel:WORD_1 src1_sel:DWORD
	;; [unrolled: 3-line block ×4, first 2 shown]
	v_fma_f16 v58, v5, s7, v57
	v_add_f16_e32 v52, v58, v52
	v_pack_b32_f16 v20, v38, v20
	v_pack_b32_f16 v38, v52, v45
	ds_write2_b32 v31, v38, v20 offset0:2 offset1:3
	v_mul_f16_sdwa v20, v10, s14 dst_sel:DWORD dst_unused:UNUSED_PAD src0_sel:WORD_1 src1_sel:DWORD
	v_fma_f16 v38, v18, s22, v20
	v_mul_f16_sdwa v45, v12, s12 dst_sel:DWORD dst_unused:UNUSED_PAD src0_sel:WORD_1 src1_sel:DWORD
	v_add_f16_sdwa v38, v4, v38 dst_sel:DWORD dst_unused:UNUSED_PAD src0_sel:WORD_1 src1_sel:DWORD
	v_fma_f16 v52, v17, s19, v45
	v_add_f16_e32 v38, v52, v38
	v_mul_f16_sdwa v52, v1, s6 dst_sel:DWORD dst_unused:UNUSED_PAD src0_sel:WORD_1 src1_sel:DWORD
	v_fma_f16 v58, v15, s26, v52
	v_add_f16_e32 v38, v58, v38
	v_mul_f16_sdwa v58, v8, s15 dst_sel:DWORD dst_unused:UNUSED_PAD src0_sel:WORD_1 src1_sel:DWORD
	;; [unrolled: 3-line block ×5, first 2 shown]
	v_fma_f16 v62, v10, s14, v61
	v_mul_f16_sdwa v63, v17, s21 dst_sel:DWORD dst_unused:UNUSED_PAD src0_sel:WORD_1 src1_sel:DWORD
	v_add_f16_e32 v62, v4, v62
	v_fma_f16 v64, v12, s12, v63
	v_add_f16_e32 v62, v64, v62
	v_mul_f16_sdwa v64, v15, s10 dst_sel:DWORD dst_unused:UNUSED_PAD src0_sel:WORD_1 src1_sel:DWORD
	v_fma_f16 v65, v1, s6, v64
	v_add_f16_e32 v62, v65, v62
	v_mul_f16_sdwa v65, v13, s24 dst_sel:DWORD dst_unused:UNUSED_PAD src0_sel:WORD_1 src1_sel:DWORD
	;; [unrolled: 3-line block ×5, first 2 shown]
	v_fma_f16 v69, v18, s25, v68
	v_mul_f16_sdwa v70, v12, s14 dst_sel:DWORD dst_unused:UNUSED_PAD src0_sel:WORD_1 src1_sel:DWORD
	v_add_f16_sdwa v69, v4, v69 dst_sel:DWORD dst_unused:UNUSED_PAD src0_sel:WORD_1 src1_sel:DWORD
	v_fma_f16 v71, v17, s20, v70
	v_add_f16_e32 v69, v71, v69
	v_mul_f16_sdwa v71, v1, s7 dst_sel:DWORD dst_unused:UNUSED_PAD src0_sel:WORD_1 src1_sel:DWORD
	v_fma_f16 v72, v15, s18, v71
	v_add_f16_e32 v69, v72, v69
	v_mul_f16_sdwa v72, v8, s12 dst_sel:DWORD dst_unused:UNUSED_PAD src0_sel:WORD_1 src1_sel:DWORD
	;; [unrolled: 3-line block ×5, first 2 shown]
	v_fma_f16 v76, v10, s13, v75
	v_mul_f16_sdwa v77, v17, s22 dst_sel:DWORD dst_unused:UNUSED_PAD src0_sel:WORD_1 src1_sel:DWORD
	v_add_f16_e32 v76, v4, v76
	v_fma_f16 v78, v12, s14, v77
	v_add_f16_e32 v76, v78, v76
	v_mul_f16_sdwa v78, v15, s23 dst_sel:DWORD dst_unused:UNUSED_PAD src0_sel:WORD_1 src1_sel:DWORD
	v_fma_f16 v79, v1, s7, v78
	v_add_f16_e32 v76, v79, v76
	v_mul_f16_sdwa v79, v13, s19 dst_sel:DWORD dst_unused:UNUSED_PAD src0_sel:WORD_1 src1_sel:DWORD
	;; [unrolled: 3-line block ×4, first 2 shown]
	v_fma_f16 v82, v5, s6, v81
	v_add_f16_e32 v76, v82, v76
	v_pack_b32_f16 v38, v62, v38
	v_pack_b32_f16 v62, v76, v69
	ds_write2_b32 v31, v62, v38 offset0:4 offset1:5
	v_pk_mul_f16 v38, v10, s15 op_sel_hi:[1,0]
	v_pk_fma_f16 v62, v18, s17, v38 op_sel:[0,0,1] op_sel_hi:[1,0,0] neg_lo:[1,0,0] neg_hi:[1,0,0]
	v_pk_mul_f16 v69, v12, s7 op_sel_hi:[1,0]
	v_pk_add_f16 v62, v4, v62 op_sel:[1,0] op_sel_hi:[0,1]
	v_pk_fma_f16 v76, v17, s23, v69 op_sel:[0,0,1] op_sel_hi:[1,0,0] neg_lo:[1,0,0] neg_hi:[1,0,0]
	v_pk_add_f16 v62, v76, v62
	v_pk_mul_f16 v76, v1, s14 op_sel_hi:[1,0]
	v_pk_fma_f16 v82, v15, s20, v76 op_sel:[0,0,1] op_sel_hi:[1,0,0] neg_lo:[1,0,0] neg_hi:[1,0,0]
	v_pk_add_f16 v62, v82, v62
	v_pk_mul_f16 v82, v8, s6 op_sel_hi:[1,0]
	;; [unrolled: 3-line block ×4, first 2 shown]
	v_pk_fma_f16 v85, v14, s21, v84 op_sel:[0,0,1] op_sel_hi:[1,0,0] neg_lo:[1,0,0] neg_hi:[1,0,0]
	v_pk_add_f16 v62, v85, v62
	v_pk_fma_f16 v38, v18, s17, v38 op_sel:[0,0,1] op_sel_hi:[1,0,0]
	v_alignbit_b32 v85, s0, v4, 16
	v_pk_add_f16 v85, v85, v38
	v_pk_fma_f16 v69, v17, s23, v69 op_sel:[0,0,1] op_sel_hi:[1,0,0]
	v_alignbit_b32 v38, s0, v38, 16
	v_pk_add_f16 v85, v69, v85
	v_pk_add_f16 v38, v4, v38
	v_alignbit_b32 v69, s0, v69, 16
	v_pk_add_f16 v38, v69, v38
	v_pk_fma_f16 v69, v15, s20, v76 op_sel:[0,0,1] op_sel_hi:[1,0,0]
	v_pk_add_f16 v76, v69, v85
	v_alignbit_b32 v69, s0, v69, 16
	v_pk_add_f16 v38, v69, v38
	v_pk_fma_f16 v69, v13, s26, v82 op_sel:[0,0,1] op_sel_hi:[1,0,0]
	;; [unrolled: 4-line block ×4, first 2 shown]
	v_pk_add_f16 v76, v69, v76
	v_alignbit_b32 v69, s0, v69, 16
	v_pk_add_f16 v38, v69, v38
	v_alignbit_b32 v69, v76, v62, 16
	v_pack_b32_f16 v38, v38, v62
	v_fma_f16 v20, v18, s20, v20
	ds_write2_b32 v31, v38, v69 offset0:6 offset1:7
	v_add_f16_sdwa v20, v4, v20 dst_sel:DWORD dst_unused:UNUSED_PAD src0_sel:WORD_1 src1_sel:DWORD
	v_fma_f16 v38, v17, s21, v45
	v_add_f16_e32 v20, v38, v20
	v_fma_f16 v38, v15, s10, v52
	v_add_f16_e32 v20, v38, v20
	;; [unrolled: 2-line block ×5, first 2 shown]
	v_fma_f16 v38, v10, s14, -v61
	v_add_f16_e32 v38, v4, v38
	v_fma_f16 v45, v12, s12, -v63
	v_add_f16_e32 v38, v45, v38
	;; [unrolled: 2-line block ×6, first 2 shown]
	v_fma_f16 v45, v18, s16, v68
	v_add_f16_sdwa v45, v4, v45 dst_sel:DWORD dst_unused:UNUSED_PAD src0_sel:WORD_1 src1_sel:DWORD
	v_fma_f16 v52, v17, s22, v70
	v_add_f16_e32 v45, v52, v45
	v_fma_f16 v52, v15, s23, v71
	v_add_f16_e32 v45, v52, v45
	;; [unrolled: 2-line block ×5, first 2 shown]
	v_fma_f16 v52, v10, s13, -v75
	v_add_f16_e32 v52, v4, v52
	v_fma_f16 v58, v12, s14, -v77
	v_add_f16_e32 v52, v58, v52
	;; [unrolled: 2-line block ×6, first 2 shown]
	v_pack_b32_f16 v45, v52, v45
	v_pack_b32_f16 v20, v38, v20
	v_fma_f16 v19, v18, s19, v19
	ds_write2_b32 v31, v20, v45 offset0:8 offset1:9
	v_add_f16_sdwa v19, v4, v19 dst_sel:DWORD dst_unused:UNUSED_PAD src0_sel:WORD_1 src1_sel:DWORD
	v_fma_f16 v20, v17, s17, v32
	v_add_f16_e32 v19, v20, v19
	v_fma_f16 v20, v15, s25, v33
	v_add_f16_e32 v19, v20, v19
	v_fma_f16 v20, v13, s23, v34
	v_add_f16_e32 v19, v20, v19
	v_fma_f16 v20, v11, s10, v35
	v_add_f16_e32 v19, v20, v19
	v_fma_f16 v20, v14, s20, v36
	v_add_f16_e32 v19, v20, v19
	v_fma_f16 v20, v10, s12, -v37
	v_fma_f16 v18, v18, s10, v44
	v_fma_f16 v10, v10, s6, -v51
	v_add_f16_e32 v20, v4, v20
	v_fma_f16 v32, v12, s15, -v39
	v_fma_f16 v17, v17, s16, v46
	v_add_f16_sdwa v18, v4, v18 dst_sel:DWORD dst_unused:UNUSED_PAD src0_sel:WORD_1 src1_sel:DWORD
	v_fma_f16 v12, v12, s13, -v53
	v_add_f16_e32 v10, v4, v10
	v_add_f16_e32 v20, v32, v20
	v_fma_f16 v32, v1, s13, -v40
	v_add_f16_e32 v17, v17, v18
	v_fma_f16 v15, v15, s17, v47
	v_add_f16_e32 v10, v12, v10
	v_fma_f16 v1, v1, s15, -v54
	v_add_f16_e32 v20, v32, v20
	v_fma_f16 v32, v8, s7, -v41
	v_add_f16_e32 v15, v15, v17
	v_fma_f16 v13, v13, s22, v48
	v_add_f16_e32 v1, v1, v10
	v_fma_f16 v8, v8, s14, -v55
	;; [unrolled: 6-line block ×4, first 2 shown]
	v_add_f16_e32 v20, v32, v20
	v_add_f16_e32 v11, v13, v11
	;; [unrolled: 1-line block ×3, first 2 shown]
	v_pack_b32_f16 v1, v1, v11
	v_pack_b32_f16 v5, v20, v19
	ds_write2_b32 v31, v5, v1 offset0:10 offset1:11
	v_bfi_b32 v1, s11, v6, v7
	v_pk_add_f16 v1, v4, v1
	v_bfi_b32 v4, s11, v21, v22
	v_pk_add_f16 v1, v4, v1
	;; [unrolled: 2-line block ×6, first 2 shown]
	ds_write_b32 v31, v1 offset:48
.LBB0_13:
	s_or_b64 exec, exec, s[4:5]
	s_movk_i32 s4, 0x4f
	v_add_u32_e32 v27, 0x270, v0
	v_mul_lo_u16_sdwa v17, v0, s4 dst_sel:DWORD dst_unused:UNUSED_PAD src0_sel:BYTE_0 src1_sel:DWORD
	s_movk_i32 s4, 0x4ec5
	v_add_u32_e32 v1, 0xd0, v0
	v_add_u32_e32 v15, 0x1a0, v0
	v_mul_u32_u24_sdwa v28, v27, s4 dst_sel:DWORD dst_unused:UNUSED_PAD src0_sel:WORD_0 src1_sel:DWORD
	v_mul_u32_u24_sdwa v19, v1, s4 dst_sel:DWORD dst_unused:UNUSED_PAD src0_sel:WORD_0 src1_sel:DWORD
	;; [unrolled: 1-line block ×3, first 2 shown]
	v_lshrrev_b32_e32 v23, 18, v28
	v_lshrrev_b16_e32 v18, 10, v17
	v_lshrrev_b32_e32 v20, 18, v19
	v_lshrrev_b32_e32 v22, 18, v21
	v_mul_lo_u16_e32 v7, 13, v23
	v_mul_lo_u16_e32 v4, 13, v18
	;; [unrolled: 1-line block ×4, first 2 shown]
	v_sub_u16_e32 v7, v27, v7
	v_sub_u16_e32 v4, v0, v4
	;; [unrolled: 1-line block ×4, first 2 shown]
	v_mov_b32_e32 v24, 2
	v_lshlrev_b32_e32 v30, 2, v7
	s_waitcnt lgkmcnt(0)
	s_barrier
	v_lshlrev_b32_sdwa v25, v24, v4 dst_sel:DWORD dst_unused:UNUSED_PAD src0_sel:DWORD src1_sel:BYTE_0
	v_lshlrev_b32_e32 v26, 2, v5
	v_lshlrev_b32_e32 v29, 2, v6
	global_load_dword v31, v30, s[8:9]
	global_load_dword v32, v29, s[8:9]
	;; [unrolled: 1-line block ×4, first 2 shown]
	v_add_u32_e32 v7, 0xd00, v16
	ds_read2_b32 v[4:5], v16 offset1:208
	v_add_u32_e32 v6, 0x600, v16
	v_add_u32_e32 v8, 0x1300, v16
	ds_read2_b32 v[9:10], v7 offset1:208
	ds_read2_b32 v[11:12], v6 offset0:32 offset1:240
	ds_read2_b32 v[13:14], v8 offset0:32 offset1:240
	v_mul_u32_u24_e32 v18, 0x68, v18
	v_mul_u32_u24_e32 v20, 0x68, v20
	;; [unrolled: 1-line block ×4, first 2 shown]
	v_add3_u32 v18, 0, v18, v25
	v_add3_u32 v20, 0, v20, v26
	;; [unrolled: 1-line block ×4, first 2 shown]
	s_mov_b32 s6, 0xffff
	s_waitcnt vmcnt(0) lgkmcnt(0)
	s_barrier
	v_lshrrev_b16_e32 v35, 11, v17
	v_lshrrev_b32_e32 v36, 19, v19
	v_lshrrev_b32_e32 v37, 19, v21
	v_mul_lo_u16_e32 v38, 26, v35
	v_mul_lo_u16_e32 v39, 26, v36
	;; [unrolled: 1-line block ×3, first 2 shown]
	v_sub_u16_e32 v38, v0, v38
	v_sub_u16_e32 v39, v1, v39
	;; [unrolled: 1-line block ×3, first 2 shown]
	v_lshrrev_b16_e32 v17, 12, v17
	s_movk_i32 s4, 0x1000
	s_add_u32 s7, s8, 0x19cc
	v_pk_mul_f16 v25, v31, v14 op_sel:[0,1]
	v_pk_mul_f16 v26, v32, v13 op_sel:[0,1]
	;; [unrolled: 1-line block ×4, first 2 shown]
	v_pk_fma_f16 v41, v31, v14, v25 op_sel:[0,0,1] op_sel_hi:[1,1,0]
	v_pk_fma_f16 v14, v31, v14, v25 op_sel:[0,0,1] op_sel_hi:[1,0,0] neg_lo:[1,0,0] neg_hi:[1,0,0]
	v_pk_fma_f16 v25, v32, v13, v26 op_sel:[0,0,1] op_sel_hi:[1,1,0]
	v_pk_fma_f16 v13, v32, v13, v26 op_sel:[0,0,1] op_sel_hi:[1,0,0] neg_lo:[1,0,0] neg_hi:[1,0,0]
	;; [unrolled: 2-line block ×4, first 2 shown]
	v_bfi_b32 v9, s6, v29, v9
	v_bfi_b32 v14, s6, v41, v14
	;; [unrolled: 1-line block ×4, first 2 shown]
	v_pk_add_f16 v9, v4, v9 neg_lo:[0,1] neg_hi:[0,1]
	v_pk_add_f16 v14, v12, v14 neg_lo:[0,1] neg_hi:[0,1]
	;; [unrolled: 1-line block ×4, first 2 shown]
	v_pk_fma_f16 v4, v4, 2.0, v9 op_sel_hi:[1,0,1] neg_lo:[0,0,1] neg_hi:[0,0,1]
	v_pk_fma_f16 v12, v12, 2.0, v14 op_sel_hi:[1,0,1] neg_lo:[0,0,1] neg_hi:[0,0,1]
	;; [unrolled: 1-line block ×4, first 2 shown]
	ds_write2_b32 v18, v4, v9 offset1:13
	ds_write2_b32 v20, v5, v10 offset1:13
	;; [unrolled: 1-line block ×4, first 2 shown]
	v_lshrrev_b32_e32 v4, 19, v28
	v_mul_lo_u16_e32 v5, 26, v4
	v_sub_u16_e32 v5, v27, v5
	v_lshlrev_b32_e32 v5, 2, v5
	s_waitcnt lgkmcnt(0)
	s_barrier
	v_lshlrev_b32_sdwa v9, v24, v38 dst_sel:DWORD dst_unused:UNUSED_PAD src0_sel:DWORD src1_sel:BYTE_0
	v_lshlrev_b32_e32 v10, 2, v39
	v_lshlrev_b32_e32 v11, 2, v40
	global_load_dword v18, v5, s[8:9] offset:52
	global_load_dword v20, v11, s[8:9] offset:52
	;; [unrolled: 1-line block ×4, first 2 shown]
	v_mul_lo_u16_e32 v26, 52, v17
	v_mov_b32_e32 v12, 3
	v_sub_u16_e32 v26, v0, v26
	v_mul_u32_u24_e32 v13, 0xd0, v35
	v_mul_u32_u24_e32 v14, 0xd0, v36
	;; [unrolled: 1-line block ×4, first 2 shown]
	v_mul_u32_u24_sdwa v12, v26, v12 dst_sel:DWORD dst_unused:UNUSED_PAD src0_sel:BYTE_0 src1_sel:DWORD
	v_add3_u32 v29, 0, v13, v9
	v_add3_u32 v30, 0, v14, v10
	;; [unrolled: 1-line block ×4, first 2 shown]
	v_lshlrev_b32_e32 v32, 2, v12
	ds_read2_b32 v[4:5], v16 offset1:208
	ds_read2_b32 v[9:10], v7 offset1:208
	ds_read2_b32 v[11:12], v8 offset0:32 offset1:240
	ds_read2_b32 v[13:14], v6 offset0:32 offset1:240
	s_waitcnt vmcnt(0) lgkmcnt(0)
	s_barrier
	v_pk_mul_f16 v33, v18, v12 op_sel:[0,1]
	v_pk_mul_f16 v34, v20, v11 op_sel:[0,1]
	;; [unrolled: 1-line block ×4, first 2 shown]
	v_pk_fma_f16 v37, v18, v12, v33 op_sel:[0,0,1] op_sel_hi:[1,1,0]
	v_pk_fma_f16 v12, v18, v12, v33 op_sel:[0,0,1] op_sel_hi:[1,0,0] neg_lo:[1,0,0] neg_hi:[1,0,0]
	v_pk_fma_f16 v18, v20, v11, v34 op_sel:[0,0,1] op_sel_hi:[1,1,0]
	v_pk_fma_f16 v11, v20, v11, v34 op_sel:[0,0,1] op_sel_hi:[1,0,0] neg_lo:[1,0,0] neg_hi:[1,0,0]
	;; [unrolled: 2-line block ×4, first 2 shown]
	v_bfi_b32 v9, s6, v22, v9
	v_bfi_b32 v12, s6, v37, v12
	;; [unrolled: 1-line block ×4, first 2 shown]
	v_pk_add_f16 v9, v4, v9 neg_lo:[0,1] neg_hi:[0,1]
	v_pk_add_f16 v12, v14, v12 neg_lo:[0,1] neg_hi:[0,1]
	;; [unrolled: 1-line block ×4, first 2 shown]
	v_pk_fma_f16 v4, v4, 2.0, v9 op_sel_hi:[1,0,1] neg_lo:[0,0,1] neg_hi:[0,0,1]
	v_lshrrev_b32_e32 v18, 20, v19
	v_pk_fma_f16 v14, v14, 2.0, v12 op_sel_hi:[1,0,1] neg_lo:[0,0,1] neg_hi:[0,0,1]
	v_pk_fma_f16 v13, v13, 2.0, v11 op_sel_hi:[1,0,1] neg_lo:[0,0,1] neg_hi:[0,0,1]
	v_pk_fma_f16 v5, v5, 2.0, v10 op_sel_hi:[1,0,1] neg_lo:[0,0,1] neg_hi:[0,0,1]
	ds_write2_b32 v29, v4, v9 offset1:26
	ds_write2_b32 v30, v5, v10 offset1:26
	;; [unrolled: 1-line block ×4, first 2 shown]
	v_mul_lo_u16_e32 v4, 52, v18
	v_sub_u16_e32 v19, v1, v4
	v_mul_u32_u24_e32 v1, 3, v19
	v_lshlrev_b32_e32 v1, 2, v1
	s_waitcnt lgkmcnt(0)
	s_barrier
	global_load_dwordx3 v[9:11], v32, s[8:9] offset:156
	global_load_dwordx3 v[12:14], v1, s[8:9] offset:156
	v_mov_b32_e32 v1, 0
	v_lshlrev_b64 v[4:5], 2, v[0:1]
	v_lshrrev_b32_e32 v1, 22, v21
	v_mul_lo_u16_e32 v1, 0xd0, v1
	v_mov_b32_e32 v20, s9
	v_mul_u32_u24_e32 v21, 0x340, v17
	v_mul_u32_u24_e32 v22, 0x340, v18
	v_add_co_u32_e32 v17, vcc, s8, v4
	v_sub_u16_e32 v1, v15, v1
	v_lshlrev_b32_sdwa v15, v24, v26 dst_sel:DWORD dst_unused:UNUSED_PAD src0_sel:DWORD src1_sel:BYTE_0
	v_lshlrev_b32_e32 v19, 2, v19
	v_addc_co_u32_e32 v18, vcc, v20, v5, vcc
	v_add3_u32 v15, 0, v21, v15
	v_add3_u32 v29, 0, v22, v19
	ds_read2_b32 v[19:20], v16 offset1:208
	ds_read2_b32 v[21:22], v6 offset0:32 offset1:240
	ds_read2_b32 v[23:24], v7 offset1:208
	ds_read2_b32 v[25:26], v8 offset0:32 offset1:240
	ds_read_u16 v30, v16 offset:5826
	s_waitcnt lgkmcnt(4)
	v_lshrrev_b32_e32 v36, 16, v19
	s_waitcnt lgkmcnt(3)
	v_lshrrev_b32_e32 v31, 16, v21
	;; [unrolled: 2-line block ×4, first 2 shown]
	v_lshrrev_b32_e32 v34, 16, v22
	v_lshrrev_b32_e32 v35, 16, v24
	;; [unrolled: 1-line block ×3, first 2 shown]
	s_waitcnt vmcnt(0) lgkmcnt(0)
	s_barrier
	v_lshlrev_b32_e32 v1, 2, v1
	v_mul_f16_sdwa v38, v9, v31 dst_sel:DWORD dst_unused:UNUSED_PAD src0_sel:WORD_1 src1_sel:DWORD
	v_mul_f16_sdwa v39, v9, v21 dst_sel:DWORD dst_unused:UNUSED_PAD src0_sel:WORD_1 src1_sel:DWORD
	v_mul_f16_sdwa v40, v10, v32 dst_sel:DWORD dst_unused:UNUSED_PAD src0_sel:WORD_1 src1_sel:DWORD
	v_mul_f16_sdwa v41, v10, v23 dst_sel:DWORD dst_unused:UNUSED_PAD src0_sel:WORD_1 src1_sel:DWORD
	v_mul_f16_sdwa v42, v11, v33 dst_sel:DWORD dst_unused:UNUSED_PAD src0_sel:WORD_1 src1_sel:DWORD
	v_mul_f16_sdwa v43, v11, v25 dst_sel:DWORD dst_unused:UNUSED_PAD src0_sel:WORD_1 src1_sel:DWORD
	v_mul_f16_sdwa v44, v12, v34 dst_sel:DWORD dst_unused:UNUSED_PAD src0_sel:WORD_1 src1_sel:DWORD
	v_mul_f16_sdwa v45, v12, v22 dst_sel:DWORD dst_unused:UNUSED_PAD src0_sel:WORD_1 src1_sel:DWORD
	v_mul_f16_sdwa v46, v13, v35 dst_sel:DWORD dst_unused:UNUSED_PAD src0_sel:WORD_1 src1_sel:DWORD
	v_mul_f16_sdwa v47, v13, v24 dst_sel:DWORD dst_unused:UNUSED_PAD src0_sel:WORD_1 src1_sel:DWORD
	v_mul_f16_sdwa v48, v30, v14 dst_sel:DWORD dst_unused:UNUSED_PAD src0_sel:DWORD src1_sel:WORD_1
	v_mul_f16_sdwa v49, v14, v26 dst_sel:DWORD dst_unused:UNUSED_PAD src0_sel:WORD_1 src1_sel:DWORD
	v_fma_f16 v21, v9, v21, v38
	v_fma_f16 v9, v9, v31, -v39
	v_fma_f16 v23, v10, v23, v40
	v_fma_f16 v10, v10, v32, -v41
	;; [unrolled: 2-line block ×6, first 2 shown]
	v_sub_f16_e32 v23, v19, v23
	v_sub_f16_e32 v10, v36, v10
	;; [unrolled: 1-line block ×8, first 2 shown]
	v_fma_f16 v19, v19, 2.0, -v23
	v_fma_f16 v30, v36, 2.0, -v10
	;; [unrolled: 1-line block ×8, first 2 shown]
	v_add_f16_e32 v11, v23, v11
	v_sub_f16_e32 v25, v10, v25
	v_add_f16_e32 v14, v24, v14
	v_sub_f16_e32 v26, v13, v26
	v_sub_f16_e32 v21, v19, v21
	;; [unrolled: 1-line block ×5, first 2 shown]
	v_fma_f16 v23, v23, 2.0, -v11
	v_fma_f16 v10, v10, 2.0, -v25
	;; [unrolled: 1-line block ×4, first 2 shown]
	v_pack_b32_f16 v11, v11, v25
	v_pack_b32_f16 v14, v14, v26
	v_fma_f16 v19, v19, 2.0, -v21
	v_fma_f16 v25, v30, 2.0, -v9
	;; [unrolled: 1-line block ×4, first 2 shown]
	v_pack_b32_f16 v9, v21, v9
	v_pack_b32_f16 v10, v23, v10
	;; [unrolled: 1-line block ×3, first 2 shown]
	ds_write2_b32 v15, v9, v11 offset0:104 offset1:156
	v_pack_b32_f16 v9, v20, v26
	v_pack_b32_f16 v13, v24, v13
	v_pack_b32_f16 v12, v22, v12
	ds_write2_b32 v15, v19, v10 offset1:52
	ds_write2_b32 v29, v9, v13 offset1:52
	ds_write2_b32 v29, v12, v14 offset0:104 offset1:156
	v_lshrrev_b32_e32 v9, 22, v28
	v_mul_lo_u16_e32 v9, 0xd0, v9
	v_sub_u16_e32 v9, v27, v9
	s_waitcnt lgkmcnt(0)
	s_barrier
	global_load_dword v15, v[17:18], off offset:780
	v_lshlrev_b32_e32 v9, 2, v9
	global_load_dword v21, v9, s[8:9] offset:780
	global_load_dword v22, v1, s[8:9] offset:780
	v_add_u32_e32 v9, 0, v9
	v_add_u32_e32 v23, 0x1300, v9
	ds_read2_b32 v[9:10], v16 offset1:208
	ds_read2_b32 v[11:12], v7 offset1:208
	ds_read2_b32 v[13:14], v6 offset0:32 offset1:240
	ds_read2_b32 v[19:20], v8 offset0:32 offset1:240
	v_add_u32_e32 v1, 0, v1
	v_add_u32_e32 v1, 0xd00, v1
	s_waitcnt vmcnt(0) lgkmcnt(0)
	s_barrier
	s_addc_u32 s8, s9, 0
	v_pk_mul_f16 v24, v15, v11 op_sel:[0,1]
	v_pk_mul_f16 v25, v15, v12 op_sel:[0,1]
	;; [unrolled: 1-line block ×4, first 2 shown]
	v_pk_fma_f16 v28, v15, v11, v24 op_sel:[0,0,1] op_sel_hi:[1,1,0]
	v_pk_fma_f16 v11, v15, v11, v24 op_sel:[0,0,1] op_sel_hi:[1,0,0] neg_lo:[1,0,0] neg_hi:[1,0,0]
	v_pk_fma_f16 v24, v15, v12, v25 op_sel:[0,0,1] op_sel_hi:[1,1,0]
	v_pk_fma_f16 v12, v15, v12, v25 op_sel:[0,0,1] op_sel_hi:[1,0,0] neg_lo:[1,0,0] neg_hi:[1,0,0]
	;; [unrolled: 2-line block ×4, first 2 shown]
	v_bfi_b32 v11, s6, v28, v11
	v_bfi_b32 v12, s6, v24, v12
	;; [unrolled: 1-line block ×4, first 2 shown]
	v_pk_add_f16 v11, v9, v11 neg_lo:[0,1] neg_hi:[0,1]
	v_pk_add_f16 v12, v10, v12 neg_lo:[0,1] neg_hi:[0,1]
	;; [unrolled: 1-line block ×4, first 2 shown]
	v_pk_fma_f16 v9, v9, 2.0, v11 op_sel_hi:[1,0,1] neg_lo:[0,0,1] neg_hi:[0,0,1]
	v_pk_fma_f16 v10, v10, 2.0, v12 op_sel_hi:[1,0,1] neg_lo:[0,0,1] neg_hi:[0,0,1]
	;; [unrolled: 1-line block ×4, first 2 shown]
	ds_write2_b32 v16, v9, v11 offset1:208
	ds_write2_b32 v6, v10, v12 offset0:32 offset1:240
	ds_write2_b32 v1, v13, v19 offset1:208
	ds_write2_b32 v23, v14, v15 offset0:32 offset1:240
	s_waitcnt lgkmcnt(0)
	s_barrier
	global_load_dword v1, v[17:18], off offset:1612
	global_load_dword v15, v[17:18], off offset:2444
	ds_read2_b32 v[11:12], v16 offset1:208
	ds_read2_b32 v[13:14], v7 offset1:208
	ds_read2_b32 v[19:20], v6 offset0:32 offset1:240
	ds_read2_b32 v[21:22], v8 offset0:32 offset1:240
	v_add_co_u32_e32 v9, vcc, s4, v17
	v_addc_co_u32_e32 v10, vcc, 0, v18, vcc
	s_waitcnt vmcnt(0) lgkmcnt(0)
	s_barrier
	v_cmp_ne_u32_e32 vcc, 0, v0
	v_pk_mul_f16 v23, v1, v13 op_sel:[0,1]
	v_pk_mul_f16 v24, v15, v14 op_sel:[0,1]
	;; [unrolled: 1-line block ×4, first 2 shown]
	v_pk_fma_f16 v27, v1, v13, v23 op_sel:[0,0,1] op_sel_hi:[1,1,0]
	v_pk_fma_f16 v13, v1, v13, v23 op_sel:[0,0,1] op_sel_hi:[1,0,0] neg_lo:[1,0,0] neg_hi:[1,0,0]
	v_pk_fma_f16 v23, v15, v14, v24 op_sel:[0,0,1] op_sel_hi:[1,1,0]
	v_pk_fma_f16 v14, v15, v14, v24 op_sel:[0,0,1] op_sel_hi:[1,0,0] neg_lo:[1,0,0] neg_hi:[1,0,0]
	;; [unrolled: 2-line block ×4, first 2 shown]
	v_bfi_b32 v1, s6, v24, v1
	v_bfi_b32 v15, s6, v21, v15
	;; [unrolled: 1-line block ×4, first 2 shown]
	v_pk_add_f16 v1, v19, v1 neg_lo:[0,1] neg_hi:[0,1]
	v_pk_add_f16 v15, v20, v15 neg_lo:[0,1] neg_hi:[0,1]
	;; [unrolled: 1-line block ×4, first 2 shown]
	v_pk_fma_f16 v19, v19, 2.0, v1 op_sel_hi:[1,0,1] neg_lo:[0,0,1] neg_hi:[0,0,1]
	v_pk_fma_f16 v20, v20, 2.0, v15 op_sel_hi:[1,0,1] neg_lo:[0,0,1] neg_hi:[0,0,1]
	;; [unrolled: 1-line block ×4, first 2 shown]
	ds_write2_b32 v6, v13, v14 offset0:32 offset1:240
	ds_write2_b32 v8, v1, v15 offset0:32 offset1:240
	ds_write2_b32 v16, v11, v12 offset1:208
	ds_write2_b32 v7, v19, v20 offset1:208
	s_waitcnt lgkmcnt(0)
	s_barrier
	global_load_dword v1, v[17:18], off offset:3276
	global_load_dword v15, v[9:10], off offset:12
	global_load_dword v19, v[9:10], off offset:844
	global_load_dword v20, v[9:10], off offset:1676
	ds_read2_b32 v[9:10], v16 offset1:208
	ds_read2_b32 v[11:12], v7 offset1:208
	ds_read2_b32 v[13:14], v6 offset0:32 offset1:240
	ds_read2_b32 v[17:18], v8 offset0:32 offset1:240
	s_waitcnt vmcnt(0) lgkmcnt(0)
	s_barrier
	v_pk_mul_f16 v21, v1, v11 op_sel:[0,1]
	v_pk_mul_f16 v22, v15, v12 op_sel:[0,1]
	;; [unrolled: 1-line block ×4, first 2 shown]
	v_pk_fma_f16 v25, v1, v11, v21 op_sel:[0,0,1] op_sel_hi:[1,1,0]
	v_pk_fma_f16 v1, v1, v11, v21 op_sel:[0,0,1] op_sel_hi:[1,0,0] neg_lo:[1,0,0] neg_hi:[1,0,0]
	v_pk_fma_f16 v11, v15, v12, v22 op_sel:[0,0,1] op_sel_hi:[1,1,0]
	v_pk_fma_f16 v12, v15, v12, v22 op_sel:[0,0,1] op_sel_hi:[1,0,0] neg_lo:[1,0,0] neg_hi:[1,0,0]
	v_pk_fma_f16 v15, v19, v17, v23 op_sel:[0,0,1] op_sel_hi:[1,1,0]
	v_pk_fma_f16 v17, v19, v17, v23 op_sel:[0,0,1] op_sel_hi:[1,0,0] neg_lo:[1,0,0] neg_hi:[1,0,0]
	v_pk_fma_f16 v19, v20, v18, v24 op_sel:[0,0,1] op_sel_hi:[1,1,0]
	v_pk_fma_f16 v18, v20, v18, v24 op_sel:[0,0,1] op_sel_hi:[1,0,0] neg_lo:[1,0,0] neg_hi:[1,0,0]
	v_bfi_b32 v1, s6, v25, v1
	v_bfi_b32 v11, s6, v11, v12
	;; [unrolled: 1-line block ×4, first 2 shown]
	v_pk_add_f16 v1, v9, v1 neg_lo:[0,1] neg_hi:[0,1]
	v_pk_add_f16 v11, v10, v11 neg_lo:[0,1] neg_hi:[0,1]
	;; [unrolled: 1-line block ×4, first 2 shown]
	v_pk_fma_f16 v9, v9, 2.0, v1 op_sel_hi:[1,0,1] neg_lo:[0,0,1] neg_hi:[0,0,1]
	v_pk_fma_f16 v10, v10, 2.0, v11 op_sel_hi:[1,0,1] neg_lo:[0,0,1] neg_hi:[0,0,1]
	v_pk_fma_f16 v13, v13, 2.0, v12 op_sel_hi:[1,0,1] neg_lo:[0,0,1] neg_hi:[0,0,1]
	v_pk_fma_f16 v14, v14, 2.0, v15 op_sel_hi:[1,0,1] neg_lo:[0,0,1] neg_hi:[0,0,1]
	ds_write2_b32 v7, v1, v11 offset1:208
	ds_write2_b32 v8, v12, v15 offset0:32 offset1:240
	ds_write2_b32 v16, v9, v10 offset1:208
	ds_write2_b32 v6, v13, v14 offset0:32 offset1:240
	s_waitcnt lgkmcnt(0)
	s_barrier
	ds_read_b32 v9, v16
	v_lshlrev_b32_e32 v1, 2, v0
	v_sub_u32_e32 v1, 0, v1
                                        ; implicit-def: $vgpr8
                                        ; implicit-def: $vgpr6
                                        ; implicit-def: $vgpr7
	s_and_saveexec_b64 s[4:5], vcc
	s_xor_b64 s[4:5], exec, s[4:5]
	s_cbranch_execz .LBB0_15
; %bb.14:
	v_mov_b32_e32 v7, s8
	v_add_co_u32_e32 v6, vcc, s7, v4
	v_addc_co_u32_e32 v7, vcc, v7, v5, vcc
	global_load_dword v6, v[6:7], off
	ds_read_b32 v7, v1 offset:6656
	s_waitcnt lgkmcnt(0)
	v_pk_add_f16 v8, v9, v7 neg_lo:[0,1] neg_hi:[0,1]
	v_pk_add_f16 v7, v7, v9
	v_bfi_b32 v9, s6, v8, v7
	v_bfi_b32 v7, s6, v7, v8
	v_pk_mul_f16 v8, v9, 0.5 op_sel_hi:[1,0]
	v_pk_mul_f16 v9, v7, 0.5 op_sel_hi:[1,0]
	s_waitcnt vmcnt(0)
	v_pk_mul_f16 v10, v6, v8 op_sel:[1,0]
	v_pk_mul_f16 v11, v6, v8 op_sel_hi:[0,1]
	v_pk_fma_f16 v6, v7, 0.5, v10 op_sel_hi:[1,0,1]
	v_sub_f16_e32 v7, v9, v10
	v_sub_f16_sdwa v9, v10, v9 dst_sel:DWORD dst_unused:UNUSED_PAD src0_sel:WORD_1 src1_sel:WORD_1
	v_pk_add_f16 v8, v6, v11 op_sel:[0,1] op_sel_hi:[1,0]
	v_pk_add_f16 v10, v6, v11 op_sel:[0,1] op_sel_hi:[1,0] neg_lo:[0,1] neg_hi:[0,1]
	v_sub_f16_sdwa v6, v7, v11 dst_sel:DWORD dst_unused:UNUSED_PAD src0_sel:DWORD src1_sel:WORD_1
	v_bfi_b32 v8, s6, v8, v10
	v_sub_f16_e32 v7, v9, v11
                                        ; implicit-def: $vgpr9
.LBB0_15:
	s_andn2_saveexec_b64 s[4:5], s[4:5]
	s_cbranch_execz .LBB0_17
; %bb.16:
	v_mov_b32_e32 v7, 0
	ds_read_u16 v8, v7 offset:3330
	s_waitcnt lgkmcnt(1)
	v_alignbit_b32 v10, s0, v9, 16
	v_sub_f16_sdwa v6, v9, v9 dst_sel:DWORD dst_unused:UNUSED_PAD src0_sel:DWORD src1_sel:WORD_1
	v_pk_add_f16 v9, v10, v9
	s_waitcnt lgkmcnt(0)
	v_xor_b32_e32 v8, 0x8000, v8
	ds_write_b16 v7, v8 offset:3330
	v_pack_b32_f16 v8, v9, 0
.LBB0_17:
	s_or_b64 exec, exec, s[4:5]
	v_mov_b32_e32 v10, s8
	s_waitcnt lgkmcnt(0)
	v_add_co_u32_e32 v9, vcc, s7, v4
	v_addc_co_u32_e32 v10, vcc, v10, v5, vcc
	global_load_dword v11, v[9:10], off offset:832
	global_load_dword v12, v[9:10], off offset:1664
	;; [unrolled: 1-line block ×3, first 2 shown]
	ds_write_b16 v1, v7 offset:6658
	ds_write_b32 v16, v8
	ds_write_b16 v1, v6 offset:6656
	ds_read_b32 v6, v16 offset:832
	ds_read_b32 v7, v1 offset:5824
	s_mov_b32 s4, 0xffff
	s_waitcnt lgkmcnt(0)
	v_pk_add_f16 v8, v6, v7 neg_lo:[0,1] neg_hi:[0,1]
	v_pk_add_f16 v6, v6, v7
	v_bfi_b32 v7, s4, v8, v6
	v_bfi_b32 v6, s4, v6, v8
	v_pk_mul_f16 v7, v7, 0.5 op_sel_hi:[1,0]
	v_pk_mul_f16 v8, v6, 0.5 op_sel_hi:[1,0]
	s_waitcnt vmcnt(2)
	v_pk_mul_f16 v9, v11, v7 op_sel:[1,0]
	v_pk_mul_f16 v7, v11, v7 op_sel_hi:[0,1]
	v_pk_fma_f16 v6, v6, 0.5, v9 op_sel_hi:[1,0,1]
	v_sub_f16_e32 v10, v8, v9
	v_sub_f16_sdwa v8, v9, v8 dst_sel:DWORD dst_unused:UNUSED_PAD src0_sel:WORD_1 src1_sel:WORD_1
	v_pk_add_f16 v9, v6, v7 op_sel:[0,1] op_sel_hi:[1,0]
	v_pk_add_f16 v6, v6, v7 op_sel:[0,1] op_sel_hi:[1,0] neg_lo:[0,1] neg_hi:[0,1]
	v_sub_f16_sdwa v10, v10, v7 dst_sel:DWORD dst_unused:UNUSED_PAD src0_sel:DWORD src1_sel:WORD_1
	v_sub_f16_e32 v7, v8, v7
	v_bfi_b32 v6, s4, v9, v6
	ds_write_b16 v1, v7 offset:5826
	ds_write_b32 v16, v6 offset:832
	ds_write_b16 v1, v10 offset:5824
	ds_read_b32 v6, v16 offset:1664
	ds_read_b32 v7, v1 offset:4992
	s_waitcnt lgkmcnt(0)
	v_pk_add_f16 v8, v6, v7 neg_lo:[0,1] neg_hi:[0,1]
	v_pk_add_f16 v6, v6, v7
	v_bfi_b32 v7, s4, v8, v6
	v_bfi_b32 v6, s4, v6, v8
	v_pk_mul_f16 v7, v7, 0.5 op_sel_hi:[1,0]
	v_pk_mul_f16 v6, v6, 0.5 op_sel_hi:[1,0]
	s_waitcnt vmcnt(1)
	v_pk_fma_f16 v8, v12, v7, v6 op_sel:[1,0,0]
	v_pk_mul_f16 v9, v12, v7 op_sel_hi:[0,1]
	v_pk_fma_f16 v10, v12, v7, v6 op_sel:[1,0,0] neg_lo:[1,0,0] neg_hi:[1,0,0]
	v_pk_fma_f16 v6, v12, v7, v6 op_sel:[1,0,0] neg_lo:[0,0,1] neg_hi:[0,0,1]
	v_pk_add_f16 v7, v8, v9 op_sel:[0,1] op_sel_hi:[1,0]
	v_pk_add_f16 v8, v8, v9 op_sel:[0,1] op_sel_hi:[1,0] neg_lo:[0,1] neg_hi:[0,1]
	v_pk_add_f16 v10, v10, v9 op_sel:[0,1] op_sel_hi:[1,0] neg_lo:[0,1] neg_hi:[0,1]
	;; [unrolled: 1-line block ×3, first 2 shown]
	v_bfi_b32 v7, s4, v7, v8
	v_bfi_b32 v6, s4, v10, v6
	ds_write_b32 v16, v7 offset:1664
	ds_write_b32 v1, v6 offset:4992
	ds_read_b32 v6, v16 offset:2496
	ds_read_b32 v7, v1 offset:4160
	s_waitcnt lgkmcnt(0)
	v_pk_add_f16 v8, v6, v7 neg_lo:[0,1] neg_hi:[0,1]
	v_pk_add_f16 v6, v6, v7
	v_bfi_b32 v7, s4, v8, v6
	v_bfi_b32 v6, s4, v6, v8
	v_pk_mul_f16 v7, v7, 0.5 op_sel_hi:[1,0]
	v_pk_mul_f16 v6, v6, 0.5 op_sel_hi:[1,0]
	s_waitcnt vmcnt(0)
	v_pk_fma_f16 v8, v13, v7, v6 op_sel:[1,0,0]
	v_pk_mul_f16 v9, v13, v7 op_sel_hi:[0,1]
	v_pk_fma_f16 v10, v13, v7, v6 op_sel:[1,0,0] neg_lo:[1,0,0] neg_hi:[1,0,0]
	v_pk_fma_f16 v6, v13, v7, v6 op_sel:[1,0,0] neg_lo:[0,0,1] neg_hi:[0,0,1]
	v_pk_add_f16 v7, v8, v9 op_sel:[0,1] op_sel_hi:[1,0]
	v_pk_add_f16 v8, v8, v9 op_sel:[0,1] op_sel_hi:[1,0] neg_lo:[0,1] neg_hi:[0,1]
	v_pk_add_f16 v10, v10, v9 op_sel:[0,1] op_sel_hi:[1,0] neg_lo:[0,1] neg_hi:[0,1]
	;; [unrolled: 1-line block ×3, first 2 shown]
	v_bfi_b32 v7, s4, v7, v8
	v_bfi_b32 v6, s4, v10, v6
	ds_write_b32 v16, v7 offset:2496
	ds_write_b32 v1, v6 offset:4160
	s_waitcnt lgkmcnt(0)
	s_barrier
	s_and_saveexec_b64 s[4:5], s[0:1]
	s_cbranch_execz .LBB0_20
; %bb.18:
	v_mov_b32_e32 v1, s3
	v_add_co_u32_e32 v2, vcc, s2, v2
	v_addc_co_u32_e32 v1, vcc, v1, v3, vcc
	ds_read2_b32 v[6:7], v16 offset1:208
	v_add_co_u32_e32 v3, vcc, v2, v4
	v_addc_co_u32_e32 v4, vcc, v1, v5, vcc
	v_add_u32_e32 v5, 0x600, v16
	ds_read2_b32 v[8:9], v5 offset0:32 offset1:240
	v_add_u32_e32 v5, 0xd00, v16
	ds_read2_b32 v[10:11], v5 offset1:208
	s_waitcnt lgkmcnt(2)
	global_store_dword v[3:4], v6, off
	global_store_dword v[3:4], v7, off offset:832
	s_waitcnt lgkmcnt(1)
	global_store_dword v[3:4], v8, off offset:1664
	global_store_dword v[3:4], v9, off offset:2496
	s_waitcnt lgkmcnt(0)
	global_store_dword v[3:4], v10, off offset:3328
	v_add_u32_e32 v5, 0x1300, v16
	ds_read2_b32 v[5:6], v5 offset0:32 offset1:240
	v_add_co_u32_e32 v3, vcc, 0x1000, v3
	v_addc_co_u32_e32 v4, vcc, 0, v4, vcc
	s_movk_i32 s0, 0xcf
	v_cmp_eq_u32_e32 vcc, s0, v0
	global_store_dword v[3:4], v11, off offset:64
	s_waitcnt lgkmcnt(0)
	global_store_dword v[3:4], v5, off offset:896
	global_store_dword v[3:4], v6, off offset:1728
	s_and_b64 exec, exec, vcc
	s_cbranch_execz .LBB0_20
; %bb.19:
	v_mov_b32_e32 v0, 0
	ds_read_b32 v3, v0 offset:6656
	v_add_co_u32_e32 v0, vcc, 0x1000, v2
	v_addc_co_u32_e32 v1, vcc, 0, v1, vcc
	s_waitcnt lgkmcnt(0)
	global_store_dword v[0:1], v3, off offset:2560
.LBB0_20:
	s_endpgm
	.section	.rodata,"a",@progbits
	.p2align	6, 0x0
	.amdhsa_kernel fft_rtc_back_len1664_factors_13_2_2_4_2_2_2_wgs_208_tpt_208_halfLds_half_ip_CI_unitstride_sbrr_R2C_dirReg
		.amdhsa_group_segment_fixed_size 0
		.amdhsa_private_segment_fixed_size 0
		.amdhsa_kernarg_size 88
		.amdhsa_user_sgpr_count 6
		.amdhsa_user_sgpr_private_segment_buffer 1
		.amdhsa_user_sgpr_dispatch_ptr 0
		.amdhsa_user_sgpr_queue_ptr 0
		.amdhsa_user_sgpr_kernarg_segment_ptr 1
		.amdhsa_user_sgpr_dispatch_id 0
		.amdhsa_user_sgpr_flat_scratch_init 0
		.amdhsa_user_sgpr_private_segment_size 0
		.amdhsa_uses_dynamic_stack 0
		.amdhsa_system_sgpr_private_segment_wavefront_offset 0
		.amdhsa_system_sgpr_workgroup_id_x 1
		.amdhsa_system_sgpr_workgroup_id_y 0
		.amdhsa_system_sgpr_workgroup_id_z 0
		.amdhsa_system_sgpr_workgroup_info 0
		.amdhsa_system_vgpr_workitem_id 0
		.amdhsa_next_free_vgpr 86
		.amdhsa_next_free_sgpr 27
		.amdhsa_reserve_vcc 1
		.amdhsa_reserve_flat_scratch 0
		.amdhsa_float_round_mode_32 0
		.amdhsa_float_round_mode_16_64 0
		.amdhsa_float_denorm_mode_32 3
		.amdhsa_float_denorm_mode_16_64 3
		.amdhsa_dx10_clamp 1
		.amdhsa_ieee_mode 1
		.amdhsa_fp16_overflow 0
		.amdhsa_exception_fp_ieee_invalid_op 0
		.amdhsa_exception_fp_denorm_src 0
		.amdhsa_exception_fp_ieee_div_zero 0
		.amdhsa_exception_fp_ieee_overflow 0
		.amdhsa_exception_fp_ieee_underflow 0
		.amdhsa_exception_fp_ieee_inexact 0
		.amdhsa_exception_int_div_zero 0
	.end_amdhsa_kernel
	.text
.Lfunc_end0:
	.size	fft_rtc_back_len1664_factors_13_2_2_4_2_2_2_wgs_208_tpt_208_halfLds_half_ip_CI_unitstride_sbrr_R2C_dirReg, .Lfunc_end0-fft_rtc_back_len1664_factors_13_2_2_4_2_2_2_wgs_208_tpt_208_halfLds_half_ip_CI_unitstride_sbrr_R2C_dirReg
                                        ; -- End function
	.section	.AMDGPU.csdata,"",@progbits
; Kernel info:
; codeLenInByte = 7864
; NumSgprs: 31
; NumVgprs: 86
; ScratchSize: 0
; MemoryBound: 0
; FloatMode: 240
; IeeeMode: 1
; LDSByteSize: 0 bytes/workgroup (compile time only)
; SGPRBlocks: 3
; VGPRBlocks: 21
; NumSGPRsForWavesPerEU: 31
; NumVGPRsForWavesPerEU: 86
; Occupancy: 2
; WaveLimiterHint : 1
; COMPUTE_PGM_RSRC2:SCRATCH_EN: 0
; COMPUTE_PGM_RSRC2:USER_SGPR: 6
; COMPUTE_PGM_RSRC2:TRAP_HANDLER: 0
; COMPUTE_PGM_RSRC2:TGID_X_EN: 1
; COMPUTE_PGM_RSRC2:TGID_Y_EN: 0
; COMPUTE_PGM_RSRC2:TGID_Z_EN: 0
; COMPUTE_PGM_RSRC2:TIDIG_COMP_CNT: 0
	.type	__hip_cuid_24d8e48208c197b4,@object ; @__hip_cuid_24d8e48208c197b4
	.section	.bss,"aw",@nobits
	.globl	__hip_cuid_24d8e48208c197b4
__hip_cuid_24d8e48208c197b4:
	.byte	0                               ; 0x0
	.size	__hip_cuid_24d8e48208c197b4, 1

	.ident	"AMD clang version 19.0.0git (https://github.com/RadeonOpenCompute/llvm-project roc-6.4.0 25133 c7fe45cf4b819c5991fe208aaa96edf142730f1d)"
	.section	".note.GNU-stack","",@progbits
	.addrsig
	.addrsig_sym __hip_cuid_24d8e48208c197b4
	.amdgpu_metadata
---
amdhsa.kernels:
  - .args:
      - .actual_access:  read_only
        .address_space:  global
        .offset:         0
        .size:           8
        .value_kind:     global_buffer
      - .offset:         8
        .size:           8
        .value_kind:     by_value
      - .actual_access:  read_only
        .address_space:  global
        .offset:         16
        .size:           8
        .value_kind:     global_buffer
      - .actual_access:  read_only
        .address_space:  global
        .offset:         24
        .size:           8
        .value_kind:     global_buffer
      - .offset:         32
        .size:           8
        .value_kind:     by_value
      - .actual_access:  read_only
        .address_space:  global
        .offset:         40
        .size:           8
        .value_kind:     global_buffer
      - .actual_access:  read_only
        .address_space:  global
        .offset:         48
        .size:           8
        .value_kind:     global_buffer
      - .offset:         56
        .size:           4
        .value_kind:     by_value
      - .actual_access:  read_only
        .address_space:  global
        .offset:         64
        .size:           8
        .value_kind:     global_buffer
      - .actual_access:  read_only
        .address_space:  global
        .offset:         72
        .size:           8
        .value_kind:     global_buffer
      - .address_space:  global
        .offset:         80
        .size:           8
        .value_kind:     global_buffer
    .group_segment_fixed_size: 0
    .kernarg_segment_align: 8
    .kernarg_segment_size: 88
    .language:       OpenCL C
    .language_version:
      - 2
      - 0
    .max_flat_workgroup_size: 208
    .name:           fft_rtc_back_len1664_factors_13_2_2_4_2_2_2_wgs_208_tpt_208_halfLds_half_ip_CI_unitstride_sbrr_R2C_dirReg
    .private_segment_fixed_size: 0
    .sgpr_count:     31
    .sgpr_spill_count: 0
    .symbol:         fft_rtc_back_len1664_factors_13_2_2_4_2_2_2_wgs_208_tpt_208_halfLds_half_ip_CI_unitstride_sbrr_R2C_dirReg.kd
    .uniform_work_group_size: 1
    .uses_dynamic_stack: false
    .vgpr_count:     86
    .vgpr_spill_count: 0
    .wavefront_size: 64
amdhsa.target:   amdgcn-amd-amdhsa--gfx906
amdhsa.version:
  - 1
  - 2
...

	.end_amdgpu_metadata
